;; amdgpu-corpus repo=ROCm/rocFFT kind=compiled arch=gfx1030 opt=O3
	.text
	.amdgcn_target "amdgcn-amd-amdhsa--gfx1030"
	.amdhsa_code_object_version 6
	.protected	fft_rtc_back_len726_factors_11_6_11_wgs_132_tpt_66_half_op_CI_CI_unitstride_sbrr_R2C_dirReg ; -- Begin function fft_rtc_back_len726_factors_11_6_11_wgs_132_tpt_66_half_op_CI_CI_unitstride_sbrr_R2C_dirReg
	.globl	fft_rtc_back_len726_factors_11_6_11_wgs_132_tpt_66_half_op_CI_CI_unitstride_sbrr_R2C_dirReg
	.p2align	8
	.type	fft_rtc_back_len726_factors_11_6_11_wgs_132_tpt_66_half_op_CI_CI_unitstride_sbrr_R2C_dirReg,@function
fft_rtc_back_len726_factors_11_6_11_wgs_132_tpt_66_half_op_CI_CI_unitstride_sbrr_R2C_dirReg: ; @fft_rtc_back_len726_factors_11_6_11_wgs_132_tpt_66_half_op_CI_CI_unitstride_sbrr_R2C_dirReg
; %bb.0:
	s_clause 0x2
	s_load_dwordx4 s[12:15], s[4:5], 0x0
	s_load_dwordx4 s[8:11], s[4:5], 0x58
	;; [unrolled: 1-line block ×3, first 2 shown]
	v_mul_u32_u24_e32 v1, 0x3e1, v0
	v_mov_b32_e32 v3, 0
	v_lshrrev_b32_e32 v7, 16, v1
	v_mov_b32_e32 v1, 0
	v_mov_b32_e32 v6, v3
	v_mov_b32_e32 v2, 0
	v_lshl_add_u32 v5, s6, 1, v7
	s_waitcnt lgkmcnt(0)
	v_cmp_lt_u64_e64 s0, s[14:15], 2
	s_and_b32 vcc_lo, exec_lo, s0
	s_cbranch_vccnz .LBB0_8
; %bb.1:
	s_load_dwordx2 s[0:1], s[4:5], 0x10
	v_mov_b32_e32 v1, 0
	v_mov_b32_e32 v2, 0
	s_add_u32 s2, s18, 8
	s_addc_u32 s3, s19, 0
	s_add_u32 s6, s16, 8
	s_addc_u32 s7, s17, 0
	v_mov_b32_e32 v9, v2
	v_mov_b32_e32 v8, v1
	s_mov_b64 s[22:23], 1
	s_waitcnt lgkmcnt(0)
	s_add_u32 s20, s0, 8
	s_addc_u32 s21, s1, 0
.LBB0_2:                                ; =>This Inner Loop Header: Depth=1
	s_load_dwordx2 s[24:25], s[20:21], 0x0
                                        ; implicit-def: $vgpr12_vgpr13
	s_mov_b32 s0, exec_lo
	s_waitcnt lgkmcnt(0)
	v_or_b32_e32 v4, s25, v6
	v_cmpx_ne_u64_e32 0, v[3:4]
	s_xor_b32 s1, exec_lo, s0
	s_cbranch_execz .LBB0_4
; %bb.3:                                ;   in Loop: Header=BB0_2 Depth=1
	v_cvt_f32_u32_e32 v4, s24
	v_cvt_f32_u32_e32 v10, s25
	s_sub_u32 s0, 0, s24
	s_subb_u32 s26, 0, s25
	v_fmac_f32_e32 v4, 0x4f800000, v10
	v_rcp_f32_e32 v4, v4
	v_mul_f32_e32 v4, 0x5f7ffffc, v4
	v_mul_f32_e32 v10, 0x2f800000, v4
	v_trunc_f32_e32 v10, v10
	v_fmac_f32_e32 v4, 0xcf800000, v10
	v_cvt_u32_f32_e32 v10, v10
	v_cvt_u32_f32_e32 v4, v4
	v_mul_lo_u32 v11, s0, v10
	v_mul_hi_u32 v12, s0, v4
	v_mul_lo_u32 v13, s26, v4
	v_add_nc_u32_e32 v11, v12, v11
	v_mul_lo_u32 v12, s0, v4
	v_add_nc_u32_e32 v11, v11, v13
	v_mul_hi_u32 v13, v4, v12
	v_mul_lo_u32 v14, v4, v11
	v_mul_hi_u32 v15, v4, v11
	v_mul_hi_u32 v16, v10, v12
	v_mul_lo_u32 v12, v10, v12
	v_mul_hi_u32 v17, v10, v11
	v_mul_lo_u32 v11, v10, v11
	v_add_co_u32 v13, vcc_lo, v13, v14
	v_add_co_ci_u32_e32 v14, vcc_lo, 0, v15, vcc_lo
	v_add_co_u32 v12, vcc_lo, v13, v12
	v_add_co_ci_u32_e32 v12, vcc_lo, v14, v16, vcc_lo
	v_add_co_ci_u32_e32 v13, vcc_lo, 0, v17, vcc_lo
	v_add_co_u32 v11, vcc_lo, v12, v11
	v_add_co_ci_u32_e32 v12, vcc_lo, 0, v13, vcc_lo
	v_add_co_u32 v4, vcc_lo, v4, v11
	v_add_co_ci_u32_e32 v10, vcc_lo, v10, v12, vcc_lo
	v_mul_hi_u32 v11, s0, v4
	v_mul_lo_u32 v13, s26, v4
	v_mul_lo_u32 v12, s0, v10
	v_add_nc_u32_e32 v11, v11, v12
	v_mul_lo_u32 v12, s0, v4
	v_add_nc_u32_e32 v11, v11, v13
	v_mul_hi_u32 v13, v4, v12
	v_mul_lo_u32 v14, v4, v11
	v_mul_hi_u32 v15, v4, v11
	v_mul_hi_u32 v16, v10, v12
	v_mul_lo_u32 v12, v10, v12
	v_mul_hi_u32 v17, v10, v11
	v_mul_lo_u32 v11, v10, v11
	v_add_co_u32 v13, vcc_lo, v13, v14
	v_add_co_ci_u32_e32 v14, vcc_lo, 0, v15, vcc_lo
	v_add_co_u32 v12, vcc_lo, v13, v12
	v_add_co_ci_u32_e32 v12, vcc_lo, v14, v16, vcc_lo
	v_add_co_ci_u32_e32 v13, vcc_lo, 0, v17, vcc_lo
	v_add_co_u32 v11, vcc_lo, v12, v11
	v_add_co_ci_u32_e32 v12, vcc_lo, 0, v13, vcc_lo
	v_add_co_u32 v4, vcc_lo, v4, v11
	v_add_co_ci_u32_e32 v14, vcc_lo, v10, v12, vcc_lo
	v_mul_hi_u32 v16, v5, v4
	v_mad_u64_u32 v[12:13], null, v6, v4, 0
	v_mad_u64_u32 v[10:11], null, v5, v14, 0
	v_mad_u64_u32 v[14:15], null, v6, v14, 0
	v_add_co_u32 v4, vcc_lo, v16, v10
	v_add_co_ci_u32_e32 v10, vcc_lo, 0, v11, vcc_lo
	v_add_co_u32 v4, vcc_lo, v4, v12
	v_add_co_ci_u32_e32 v4, vcc_lo, v10, v13, vcc_lo
	v_add_co_ci_u32_e32 v10, vcc_lo, 0, v15, vcc_lo
	v_add_co_u32 v4, vcc_lo, v4, v14
	v_add_co_ci_u32_e32 v12, vcc_lo, 0, v10, vcc_lo
	v_mul_lo_u32 v13, s25, v4
	v_mad_u64_u32 v[10:11], null, s24, v4, 0
	v_mul_lo_u32 v14, s24, v12
	v_sub_co_u32 v10, vcc_lo, v5, v10
	v_add3_u32 v11, v11, v14, v13
	v_sub_nc_u32_e32 v13, v6, v11
	v_subrev_co_ci_u32_e64 v13, s0, s25, v13, vcc_lo
	v_add_co_u32 v14, s0, v4, 2
	v_add_co_ci_u32_e64 v15, s0, 0, v12, s0
	v_sub_co_u32 v16, s0, v10, s24
	v_sub_co_ci_u32_e32 v11, vcc_lo, v6, v11, vcc_lo
	v_subrev_co_ci_u32_e64 v13, s0, 0, v13, s0
	v_cmp_le_u32_e32 vcc_lo, s24, v16
	v_cmp_eq_u32_e64 s0, s25, v11
	v_cndmask_b32_e64 v16, 0, -1, vcc_lo
	v_cmp_le_u32_e32 vcc_lo, s25, v13
	v_cndmask_b32_e64 v17, 0, -1, vcc_lo
	v_cmp_le_u32_e32 vcc_lo, s24, v10
	;; [unrolled: 2-line block ×3, first 2 shown]
	v_cndmask_b32_e64 v18, 0, -1, vcc_lo
	v_cmp_eq_u32_e32 vcc_lo, s25, v13
	v_cndmask_b32_e64 v10, v18, v10, s0
	v_cndmask_b32_e32 v13, v17, v16, vcc_lo
	v_add_co_u32 v16, vcc_lo, v4, 1
	v_add_co_ci_u32_e32 v17, vcc_lo, 0, v12, vcc_lo
	v_cmp_ne_u32_e32 vcc_lo, 0, v13
	v_cndmask_b32_e32 v11, v17, v15, vcc_lo
	v_cndmask_b32_e32 v14, v16, v14, vcc_lo
	v_cmp_ne_u32_e32 vcc_lo, 0, v10
	v_cndmask_b32_e32 v13, v12, v11, vcc_lo
	v_cndmask_b32_e32 v12, v4, v14, vcc_lo
.LBB0_4:                                ;   in Loop: Header=BB0_2 Depth=1
	s_andn2_saveexec_b32 s0, s1
	s_cbranch_execz .LBB0_6
; %bb.5:                                ;   in Loop: Header=BB0_2 Depth=1
	v_cvt_f32_u32_e32 v4, s24
	s_sub_i32 s1, 0, s24
	v_mov_b32_e32 v13, v3
	v_rcp_iflag_f32_e32 v4, v4
	v_mul_f32_e32 v4, 0x4f7ffffe, v4
	v_cvt_u32_f32_e32 v4, v4
	v_mul_lo_u32 v10, s1, v4
	v_mul_hi_u32 v10, v4, v10
	v_add_nc_u32_e32 v4, v4, v10
	v_mul_hi_u32 v4, v5, v4
	v_mul_lo_u32 v10, v4, s24
	v_add_nc_u32_e32 v11, 1, v4
	v_sub_nc_u32_e32 v10, v5, v10
	v_subrev_nc_u32_e32 v12, s24, v10
	v_cmp_le_u32_e32 vcc_lo, s24, v10
	v_cndmask_b32_e32 v10, v10, v12, vcc_lo
	v_cndmask_b32_e32 v4, v4, v11, vcc_lo
	v_cmp_le_u32_e32 vcc_lo, s24, v10
	v_add_nc_u32_e32 v11, 1, v4
	v_cndmask_b32_e32 v12, v4, v11, vcc_lo
.LBB0_6:                                ;   in Loop: Header=BB0_2 Depth=1
	s_or_b32 exec_lo, exec_lo, s0
	v_mul_lo_u32 v4, v13, s24
	v_mul_lo_u32 v14, v12, s25
	s_load_dwordx2 s[0:1], s[6:7], 0x0
	v_mad_u64_u32 v[10:11], null, v12, s24, 0
	s_load_dwordx2 s[24:25], s[2:3], 0x0
	s_add_u32 s22, s22, 1
	s_addc_u32 s23, s23, 0
	s_add_u32 s2, s2, 8
	s_addc_u32 s3, s3, 0
	s_add_u32 s6, s6, 8
	v_add3_u32 v4, v11, v14, v4
	v_sub_co_u32 v5, vcc_lo, v5, v10
	s_addc_u32 s7, s7, 0
	s_add_u32 s20, s20, 8
	v_sub_co_ci_u32_e32 v4, vcc_lo, v6, v4, vcc_lo
	s_addc_u32 s21, s21, 0
	s_waitcnt lgkmcnt(0)
	v_mul_lo_u32 v6, s0, v4
	v_mul_lo_u32 v10, s1, v5
	v_mad_u64_u32 v[1:2], null, s0, v5, v[1:2]
	v_mul_lo_u32 v4, s24, v4
	v_mul_lo_u32 v11, s25, v5
	v_mad_u64_u32 v[8:9], null, s24, v5, v[8:9]
	v_cmp_ge_u64_e64 s0, s[22:23], s[14:15]
	v_add3_u32 v2, v10, v2, v6
	v_add3_u32 v9, v11, v9, v4
	s_and_b32 vcc_lo, exec_lo, s0
	s_cbranch_vccnz .LBB0_9
; %bb.7:                                ;   in Loop: Header=BB0_2 Depth=1
	v_mov_b32_e32 v5, v12
	v_mov_b32_e32 v6, v13
	s_branch .LBB0_2
.LBB0_8:
	v_mov_b32_e32 v9, v2
	v_mov_b32_e32 v13, v6
	;; [unrolled: 1-line block ×4, first 2 shown]
.LBB0_9:
	s_load_dwordx2 s[0:1], s[4:5], 0x28
	v_and_b32_e32 v4, 1, v7
	v_mul_hi_u32 v3, 0x3e0f83f, v0
	s_lshl_b64 s[4:5], s[14:15], 3
                                        ; implicit-def: $vgpr10
                                        ; implicit-def: $vgpr14
	s_add_u32 s2, s18, s4
	s_addc_u32 s3, s19, s5
	s_waitcnt lgkmcnt(0)
	v_cmp_gt_u64_e32 vcc_lo, s[0:1], v[12:13]
	v_cmp_le_u64_e64 s1, s[0:1], v[12:13]
	v_cmp_eq_u32_e64 s0, 1, v4
	s_and_saveexec_b32 s6, s1
	s_xor_b32 s1, exec_lo, s6
; %bb.10:
	v_mul_u32_u24_e32 v1, 0x42, v3
                                        ; implicit-def: $vgpr3
	v_sub_nc_u32_e32 v10, v0, v1
                                        ; implicit-def: $vgpr0
                                        ; implicit-def: $vgpr1_vgpr2
	v_add_nc_u32_e32 v14, 0x42, v10
; %bb.11:
	s_or_saveexec_b32 s1, s1
	v_cndmask_b32_e64 v4, 0, 0x2d7, s0
	v_lshlrev_b32_e32 v17, 2, v4
	s_xor_b32 exec_lo, exec_lo, s1
	s_cbranch_execz .LBB0_13
; %bb.12:
	s_add_u32 s4, s16, s4
	s_addc_u32 s5, s17, s5
	v_lshlrev_b64 v[1:2], 2, v[1:2]
	s_load_dwordx2 s[4:5], s[4:5], 0x0
	s_waitcnt lgkmcnt(0)
	v_mul_lo_u32 v6, s5, v12
	v_mul_lo_u32 v7, s4, v13
	v_mad_u64_u32 v[4:5], null, s4, v12, 0
	v_add3_u32 v5, v5, v7, v6
	v_mul_u32_u24_e32 v6, 0x42, v3
	v_lshlrev_b64 v[3:4], 2, v[4:5]
	v_sub_nc_u32_e32 v10, v0, v6
	v_add_nc_u32_e32 v14, 0x42, v10
	v_add_co_u32 v0, s0, s8, v3
	v_add_co_ci_u32_e64 v3, s0, s9, v4, s0
	v_lshlrev_b32_e32 v4, 2, v10
	v_add_co_u32 v0, s0, v0, v1
	v_add_co_ci_u32_e64 v1, s0, v3, v2, s0
	v_add_co_u32 v0, s0, v0, v4
	v_add_co_ci_u32_e64 v1, s0, 0, v1, s0
	;; [unrolled: 2-line block ×3, first 2 shown]
	s_clause 0xa
	global_load_dword v5, v[0:1], off
	global_load_dword v6, v[0:1], off offset:264
	global_load_dword v7, v[0:1], off offset:528
	;; [unrolled: 1-line block ×10, first 2 shown]
	v_add3_u32 v3, 0, v17, v4
	v_add_nc_u32_e32 v4, 0x400, v3
	v_add_nc_u32_e32 v20, 0x800, v3
	s_waitcnt vmcnt(9)
	ds_write2_b32 v3, v5, v6 offset1:66
	s_waitcnt vmcnt(7)
	ds_write2_b32 v3, v7, v11 offset0:132 offset1:198
	s_waitcnt vmcnt(5)
	ds_write2_b32 v4, v15, v16 offset0:8 offset1:74
	;; [unrolled: 2-line block ×4, first 2 shown]
	s_waitcnt vmcnt(0)
	ds_write_b32 v3, v2 offset:2640
.LBB0_13:
	s_or_b32 exec_lo, exec_lo, s1
	v_add_nc_u32_e32 v25, 0, v17
	v_lshlrev_b32_e32 v11, 2, v10
	s_load_dwordx2 s[2:3], s[2:3], 0x0
	s_waitcnt lgkmcnt(0)
	s_barrier
	buffer_gl0_inv
	v_add_nc_u32_e32 v26, v25, v11
	v_add3_u32 v27, 0, v11, v17
	v_mov_b32_e32 v28, 0xb93d
	v_mov_b32_e32 v30, 0xb482
	ds_read_b32 v22, v26
	ds_read2_b32 v[0:1], v27 offset0:66 offset1:132
	v_add_nc_u32_e32 v2, 0x800, v27
	v_add_nc_u32_e32 v15, 0x200, v27
	;; [unrolled: 1-line block ×3, first 2 shown]
	ds_read2_b32 v[2:3], v2 offset0:82 offset1:148
	ds_read2_b32 v[4:5], v15 offset0:70 offset1:136
	v_add_nc_u32_e32 v21, 0x600, v27
	ds_read2_b32 v[6:7], v29 offset0:74 offset1:140
	ds_read2_b32 v[18:19], v21 offset0:78 offset1:144
	v_mov_b32_e32 v16, 0xbb47
	v_mov_b32_e32 v20, 0xbbeb
	;; [unrolled: 1-line block ×5, first 2 shown]
	v_mad_u32_u24 v31, v10, 40, v27
	s_waitcnt lgkmcnt(0)
	s_barrier
	v_pk_add_f16 v32, v22, v0
	buffer_gl0_inv
	v_cmp_gt_u32_e64 s0, 55, v10
	v_pk_add_f16 v33, v0, v3 neg_lo:[0,1] neg_hi:[0,1]
	v_pk_add_f16 v32, v32, v1
	v_pk_add_f16 v34, v3, v0
	v_pk_add_f16 v35, v2, v1
	v_pk_add_f16 v1, v1, v2 neg_lo:[0,1] neg_hi:[0,1]
	v_mul_f16_sdwa v40, v33, v30 dst_sel:DWORD dst_unused:UNUSED_PAD src0_sel:WORD_1 src1_sel:DWORD
	v_pk_add_f16 v0, v32, v4
	v_pk_mul_f16 v32, 0xb853, v33 op_sel_hi:[0,1]
	v_mul_f16_sdwa v39, v34, v28 dst_sel:DWORD dst_unused:UNUSED_PAD src0_sel:WORD_1 src1_sel:DWORD
	v_pk_mul_f16 v41, 0xbb47, v1 op_sel_hi:[0,1]
	v_mul_f16_sdwa v16, v33, v16 dst_sel:DWORD dst_unused:UNUSED_PAD src0_sel:WORD_1 src1_sel:DWORD
	v_pk_add_f16 v0, v0, v5
	v_pk_fma_f16 v42, 0x3abb, v34, v32 op_sel:[0,0,1] op_sel_hi:[0,1,0]
	v_pk_fma_f16 v32, 0x3abb, v34, v32 op_sel:[0,0,1] op_sel_hi:[0,1,0] neg_lo:[0,0,1] neg_hi:[0,0,1]
	v_fmamk_f16 v47, v33, 0x3a0c, v39
	v_pk_fma_f16 v49, 0x36a6, v35, v41 op_sel:[0,0,1] op_sel_hi:[0,1,0]
	v_pk_add_f16 v0, v0, v6
	v_pk_fma_f16 v41, 0x36a6, v35, v41 op_sel:[0,0,1] op_sel_hi:[0,1,0] neg_lo:[0,0,1] neg_hi:[0,0,1]
	v_bfi_b32 v50, 0xffff, v42, v32
	v_fmamk_f16 v48, v34, 0xbbad, v40
	v_mul_f16_sdwa v36, v33, v20 dst_sel:DWORD dst_unused:UNUSED_PAD src0_sel:WORD_1 src1_sel:DWORD
	v_pk_add_f16 v0, v0, v7
	v_mul_f16_sdwa v37, v34, v23 dst_sel:DWORD dst_unused:UNUSED_PAD src0_sel:WORD_1 src1_sel:DWORD
	v_fmamk_f16 v43, v34, 0x36a6, v16
	v_fma_f16 v16, v34, 0x36a6, -v16
	v_mul_f16_sdwa v51, v1, v24 dst_sel:DWORD dst_unused:UNUSED_PAD src0_sel:WORD_1 src1_sel:DWORD
	v_pk_add_f16 v0, v0, v18
	v_mul_f16_sdwa v38, v33, v24 dst_sel:DWORD dst_unused:UNUSED_PAD src0_sel:WORD_1 src1_sel:DWORD
	v_fmamk_f16 v44, v34, 0xb08e, v36
	v_fmamk_f16 v45, v33, 0x3beb, v37
	v_fma_f16 v36, v34, 0xb08e, -v36
	v_pk_add_f16 v0, v0, v19
	v_add_f16_e32 v43, v22, v43
	v_add_f16_e32 v16, v22, v16
	v_fmamk_f16 v53, v35, 0xb93d, v51
	v_fma_f16 v51, v35, 0xb93d, -v51
	v_pk_add_f16 v0, v0, v2
	v_add_f16_sdwa v2, v22, v47 dst_sel:DWORD dst_unused:UNUSED_PAD src0_sel:WORD_1 src1_sel:DWORD
	v_pk_add_f16 v47, v22, v50
	v_fmamk_f16 v46, v34, 0xb93d, v38
	v_add_f16_e32 v44, v22, v44
	v_pk_add_f16 v50, v0, v3
	v_fma_f16 v0, v34, 0xbbad, -v40
	v_bfi_b32 v40, 0xffff, v49, v41
	v_mov_b32_e32 v3, 0x3482
	v_add_f16_sdwa v45, v22, v45 dst_sel:DWORD dst_unused:UNUSED_PAD src0_sel:WORD_1 src1_sel:DWORD
	v_add_f16_e32 v36, v22, v36
	v_add_f16_e32 v43, v53, v43
	v_pk_add_f16 v40, v40, v47
	v_mov_b32_e32 v47, 0xbbad
	v_mul_f16_sdwa v52, v1, v3 dst_sel:DWORD dst_unused:UNUSED_PAD src0_sel:WORD_1 src1_sel:DWORD
	v_add_f16_e32 v16, v51, v16
	v_mul_f16_sdwa v51, v1, v55 dst_sel:DWORD dst_unused:UNUSED_PAD src0_sel:WORD_1 src1_sel:DWORD
	v_mul_f16_sdwa v23, v35, v23 dst_sel:DWORD dst_unused:UNUSED_PAD src0_sel:WORD_1 src1_sel:DWORD
	;; [unrolled: 1-line block ×3, first 2 shown]
	v_fmamk_f16 v54, v35, 0xbbad, v52
	v_fma_f16 v52, v35, 0xbbad, -v52
	v_fmac_f16_e32 v37, 0xbbeb, v33
	v_fmac_f16_e32 v39, 0xba0c, v33
	v_fmamk_f16 v53, v1, 0xb482, v56
	v_add_f16_e32 v46, v22, v46
	v_add_f16_e32 v44, v54, v44
	v_fmamk_f16 v54, v35, 0xb08e, v51
	v_add_f16_e32 v36, v52, v36
	v_add_f16_e32 v45, v53, v45
	v_fmamk_f16 v53, v1, 0xbbeb, v23
	v_mov_b32_e32 v52, 0x3853
	v_fma_f16 v38, v34, 0xb93d, -v38
	v_add_f16_sdwa v37, v22, v37 dst_sel:DWORD dst_unused:UNUSED_PAD src0_sel:WORD_1 src1_sel:DWORD
	v_add_f16_sdwa v39, v22, v39 dst_sel:DWORD dst_unused:UNUSED_PAD src0_sel:WORD_1 src1_sel:DWORD
	v_fmac_f16_e32 v56, 0x3482, v1
	v_add_f16_e32 v46, v54, v46
	v_add_f16_e32 v2, v53, v2
	v_pk_add_f16 v53, v4, v19 neg_lo:[0,1] neg_hi:[0,1]
	v_fmac_f16_e32 v23, 0x3beb, v1
	v_mul_f16_sdwa v54, v1, v52 dst_sel:DWORD dst_unused:UNUSED_PAD src0_sel:WORD_1 src1_sel:DWORD
	v_add_f16_e32 v38, v22, v38
	v_add_f16_e32 v48, v22, v48
	;; [unrolled: 1-line block ×3, first 2 shown]
	v_fma_f16 v51, v35, 0xb08e, -v51
	v_pk_add_f16 v4, v19, v4
	v_pk_mul_f16 v19, 0xbbeb, v53 op_sel_hi:[0,1]
	v_add_f16_e32 v23, v23, v39
	v_fmamk_f16 v39, v35, 0x3abb, v54
	v_mov_b32_e32 v56, 0x3b47
	v_add_f16_e32 v0, v22, v0
	v_add_f16_e32 v38, v51, v38
	v_fma_f16 v51, v35, 0x3abb, -v54
	v_pk_fma_f16 v54, 0xb08e, v4, v19 op_sel:[0,0,1] op_sel_hi:[0,1,0]
	v_pk_fma_f16 v57, 0xb08e, v4, v19 op_sel:[0,0,1] op_sel_hi:[0,1,0] neg_lo:[0,0,1] neg_hi:[0,0,1]
	v_add_f16_e32 v19, v39, v48
	v_mul_f16_sdwa v3, v53, v3 dst_sel:DWORD dst_unused:UNUSED_PAD src0_sel:WORD_1 src1_sel:DWORD
	v_mul_f16_sdwa v39, v53, v56 dst_sel:DWORD dst_unused:UNUSED_PAD src0_sel:WORD_1 src1_sel:DWORD
	v_add_f16_e32 v0, v51, v0
	v_bfi_b32 v48, 0xffff, v54, v57
	v_mov_b32_e32 v51, 0x36a6
	v_fmamk_f16 v58, v4, 0xbbad, v3
	v_fma_f16 v3, v4, 0xbbad, -v3
	v_fmamk_f16 v59, v4, 0x36a6, v39
	v_pk_add_f16 v40, v48, v40
	v_mul_f16_sdwa v48, v4, v51 dst_sel:DWORD dst_unused:UNUSED_PAD src0_sel:WORD_1 src1_sel:DWORD
	v_add_f16_e32 v43, v58, v43
	v_add_f16_e32 v3, v3, v16
	;; [unrolled: 1-line block ×3, first 2 shown]
	v_mov_b32_e32 v44, 0xb853
	v_fmamk_f16 v58, v53, 0xbb47, v48
	v_pk_add_f16 v59, v18, v5
	v_pk_add_f16 v5, v5, v18 neg_lo:[0,1] neg_hi:[0,1]
	v_mov_b32_e32 v18, 0x3abb
	v_mul_f16_sdwa v60, v53, v44 dst_sel:DWORD dst_unused:UNUSED_PAD src0_sel:WORD_1 src1_sel:DWORD
	v_add_f16_e32 v45, v58, v45
	v_fma_f16 v39, v4, 0x36a6, -v39
	v_fmac_f16_e32 v48, 0x3b47, v53
	v_mul_f16_sdwa v58, v4, v18 dst_sel:DWORD dst_unused:UNUSED_PAD src0_sel:WORD_1 src1_sel:DWORD
	v_fmamk_f16 v61, v4, 0x3abb, v60
	v_mul_f16_sdwa v55, v5, v55 dst_sel:DWORD dst_unused:UNUSED_PAD src0_sel:WORD_1 src1_sel:DWORD
	v_add_f16_e32 v36, v39, v36
	v_add_f16_e32 v37, v48, v37
	v_fmamk_f16 v39, v53, 0x3853, v58
	v_add_f16_e32 v46, v61, v46
	v_fma_f16 v48, v4, 0x3abb, -v60
	v_mul_f16_sdwa v60, v53, v24 dst_sel:DWORD dst_unused:UNUSED_PAD src0_sel:WORD_1 src1_sel:DWORD
	v_pk_mul_f16 v61, 0xba0c, v5 op_sel_hi:[0,1]
	v_add_f16_e32 v2, v39, v2
	v_fmac_f16_e32 v58, 0xb853, v53
	v_add_f16_e32 v38, v48, v38
	v_fmamk_f16 v39, v4, 0xb93d, v60
	v_pk_fma_f16 v48, 0xb93d, v59, v61 op_sel:[0,0,1] op_sel_hi:[0,1,0]
	v_pk_fma_f16 v61, 0xb93d, v59, v61 op_sel:[0,0,1] op_sel_hi:[0,1,0] neg_lo:[0,0,1] neg_hi:[0,0,1]
	v_add_f16_e32 v23, v58, v23
	v_fma_f16 v58, v4, 0xb93d, -v60
	v_add_f16_e32 v19, v39, v19
	v_mul_f16_sdwa v44, v5, v44 dst_sel:DWORD dst_unused:UNUSED_PAD src0_sel:WORD_1 src1_sel:DWORD
	v_bfi_b32 v39, 0xffff, v48, v61
	v_mul_f16_sdwa v18, v59, v18 dst_sel:DWORD dst_unused:UNUSED_PAD src0_sel:WORD_1 src1_sel:DWORD
	v_add_f16_e32 v0, v58, v0
	v_fmamk_f16 v58, v59, 0xb08e, v55
	v_fma_f16 v55, v59, 0xb08e, -v55
	v_pk_add_f16 v39, v39, v40
	v_fmamk_f16 v40, v59, 0x3abb, v44
	v_mul_f16_sdwa v30, v5, v30 dst_sel:DWORD dst_unused:UNUSED_PAD src0_sel:WORD_1 src1_sel:DWORD
	v_fma_f16 v44, v59, 0x3abb, -v44
	v_add_f16_e32 v3, v55, v3
	v_mul_f16_sdwa v47, v59, v47 dst_sel:DWORD dst_unused:UNUSED_PAD src0_sel:WORD_1 src1_sel:DWORD
	v_add_f16_e32 v16, v40, v16
	v_fmamk_f16 v40, v5, 0x3853, v18
	v_fmac_f16_e32 v18, 0xb853, v5
	v_fmamk_f16 v55, v59, 0xbbad, v30
	v_fma_f16 v30, v59, 0xbbad, -v30
	v_add_f16_e32 v36, v44, v36
	v_add_f16_e32 v40, v40, v45
	;; [unrolled: 1-line block ×4, first 2 shown]
	v_pk_add_f16 v45, v6, v7 neg_lo:[0,1] neg_hi:[0,1]
	v_mul_f16_sdwa v46, v5, v56 dst_sel:DWORD dst_unused:UNUSED_PAD src0_sel:WORD_1 src1_sel:DWORD
	v_fmamk_f16 v44, v5, 0x3482, v47
	v_fmac_f16_e32 v47, 0xb482, v5
	v_pk_add_f16 v6, v7, v6
	v_pk_mul_f16 v7, 0xb482, v45 op_sel_hi:[0,1]
	v_add_f16_e32 v30, v30, v38
	v_fmamk_f16 v38, v59, 0x36a6, v46
	v_add_f16_e32 v2, v44, v2
	v_add_f16_e32 v23, v47, v23
	v_pk_fma_f16 v44, 0xbbad, v6, v7 op_sel:[0,0,1] op_sel_hi:[0,1,0]
	v_pk_fma_f16 v7, 0xbbad, v6, v7 op_sel:[0,0,1] op_sel_hi:[0,1,0] neg_lo:[0,0,1] neg_hi:[0,0,1]
	v_fma_f16 v46, v59, 0x36a6, -v46
	v_mul_f16_sdwa v47, v45, v52 dst_sel:DWORD dst_unused:UNUSED_PAD src0_sel:WORD_1 src1_sel:DWORD
	v_add_f16_e32 v38, v38, v19
	v_mul_f16_sdwa v19, v45, v24 dst_sel:DWORD dst_unused:UNUSED_PAD src0_sel:WORD_1 src1_sel:DWORD
	v_add_f16_e32 v43, v58, v43
	v_bfi_b32 v24, 0xffff, v44, v7
	v_add_f16_e32 v46, v46, v0
	v_fmamk_f16 v0, v6, 0x3abb, v47
	v_fma_f16 v47, v6, 0x3abb, -v47
	v_fmamk_f16 v52, v6, 0xb93d, v19
	v_mul_f16_sdwa v28, v6, v28 dst_sel:DWORD dst_unused:UNUSED_PAD src0_sel:WORD_1 src1_sel:DWORD
	v_pk_add_f16 v24, v24, v39
	v_add_f16_e32 v39, v0, v43
	v_add_f16_e32 v0, v47, v3
	v_add_f16_e32 v43, v52, v16
	v_mul_f16_sdwa v16, v45, v56 dst_sel:DWORD dst_unused:UNUSED_PAD src0_sel:WORD_1 src1_sel:DWORD
	v_fmamk_f16 v3, v45, 0x3a0c, v28
	v_fma_f16 v19, v6, 0xb93d, -v19
	v_fmac_f16_e32 v28, 0xba0c, v45
	v_mul_f16_sdwa v47, v6, v51 dst_sel:DWORD dst_unused:UNUSED_PAD src0_sel:WORD_1 src1_sel:DWORD
	v_fmamk_f16 v51, v6, 0x36a6, v16
	v_add_f16_e32 v40, v3, v40
	v_add_f16_e32 v3, v19, v36
	;; [unrolled: 1-line block ×3, first 2 shown]
	v_fmamk_f16 v18, v45, 0xbb47, v47
	v_fma_f16 v16, v6, 0x36a6, -v16
	v_mul_f16_sdwa v36, v45, v20 dst_sel:DWORD dst_unused:UNUSED_PAD src0_sel:WORD_1 src1_sel:DWORD
	v_pk_mul_f16 v34, 0xbbad36a6, v34 op_sel:[0,1]
	v_fmac_f16_e32 v47, 0x3b47, v45
	v_add_f16_e32 v18, v18, v2
	v_add_f16_e32 v2, v16, v30
	v_fmamk_f16 v16, v6, 0xb08e, v36
	v_pk_fma_f16 v30, 0xb482bb47, v33, v34 op_sel_hi:[1,0,1]
	v_pk_mul_f16 v35, 0x3abbb93d, v35 op_sel:[0,1]
	v_add_f16_e32 v20, v47, v23
	v_fma_f16 v23, v6, 0xb08e, -v36
	v_add_f16_e32 v28, v51, v37
	v_add_f16_e32 v36, v16, v38
	v_pk_add_f16 v30, v22, v30 op_sel:[1,0]
	v_pk_fma_f16 v37, 0x3853ba0c, v1, v35 op_sel_hi:[1,0,1]
	v_pk_mul_f16 v4, 0xb93dbbad, v4 op_sel:[0,1]
	v_add_f16_e32 v16, v23, v46
	v_pk_fma_f16 v23, 0xb482bb47, v33, v34 op_sel_hi:[1,0,1] neg_lo:[0,1,0] neg_hi:[0,1,0]
	v_pk_fma_f16 v1, 0x3853ba0c, v1, v35 op_sel_hi:[1,0,1] neg_lo:[0,1,0] neg_hi:[0,1,0]
	v_pk_add_f16 v30, v37, v30
	v_pk_fma_f16 v33, 0xba0c3482, v53, v4 op_sel_hi:[1,0,1]
	v_pk_mul_f16 v34, 0x36a6b08e, v59 op_sel:[0,1]
	v_add_f16_sdwa v35, v22, v23 dst_sel:DWORD dst_unused:UNUSED_PAD src0_sel:WORD_1 src1_sel:DWORD
	v_add_f16_sdwa v23, v22, v23 dst_sel:DWORD dst_unused:UNUSED_PAD src0_sel:WORD_1 src1_sel:WORD_1
	v_pk_fma_f16 v4, 0xba0c3482, v53, v4 op_sel_hi:[1,0,1] neg_lo:[0,1,0] neg_hi:[0,1,0]
	v_pk_add_f16 v30, v33, v30
	v_pk_fma_f16 v33, 0x3b473beb, v5, v34 op_sel_hi:[1,0,1]
	v_pk_fma_f16 v5, 0x3b473beb, v5, v34 op_sel_hi:[1,0,1] neg_lo:[0,1,0] neg_hi:[0,1,0]
	v_add_f16_e32 v34, v1, v35
	v_add_f16_sdwa v1, v1, v23 dst_sel:DWORD dst_unused:UNUSED_PAD src0_sel:WORD_1 src1_sel:DWORD
	v_bfi_b32 v23, 0xffff, v32, v42
	v_pk_mul_f16 v6, 0xb08e3abb, v6 op_sel:[0,1]
	v_pk_add_f16 v30, v33, v30
	v_add_f16_e32 v32, v4, v34
	v_add_f16_sdwa v1, v4, v1 dst_sel:DWORD dst_unused:UNUSED_PAD src0_sel:WORD_1 src1_sel:DWORD
	v_pk_add_f16 v4, v22, v23
	v_bfi_b32 v22, 0xffff, v41, v49
	v_pk_fma_f16 v23, 0xbbeb3853, v45, v6 op_sel_hi:[1,0,1] neg_lo:[0,1,0] neg_hi:[0,1,0]
	v_add_f16_e32 v32, v5, v32
	v_add_f16_sdwa v1, v5, v1 dst_sel:DWORD dst_unused:UNUSED_PAD src0_sel:WORD_1 src1_sel:DWORD
	v_pk_fma_f16 v5, 0xbbeb3853, v45, v6 op_sel_hi:[1,0,1]
	v_pk_add_f16 v4, v22, v4
	v_bfi_b32 v6, 0xffff, v57, v54
	v_add_f16_e32 v32, v23, v32
	v_add_f16_sdwa v1, v23, v1 dst_sel:DWORD dst_unused:UNUSED_PAD src0_sel:WORD_1 src1_sel:DWORD
	v_pk_add_f16 v22, v5, v30
	v_bfi_b32 v5, 0xffff, v61, v48
	v_pk_add_f16 v4, v6, v4
	ds_write2_b32 v31, v50, v24 offset1:1
	v_pack_b32_f16 v24, v36, v1
	v_pack_b32_f16 v6, v43, v40
	;; [unrolled: 1-line block ×3, first 2 shown]
	v_pk_add_f16 v1, v5, v4
	v_bfi_b32 v4, 0xffff, v7, v44
	v_pack_b32_f16 v18, v28, v18
	v_bfi_b32 v5, 0xffff, v16, v22
	v_pack_b32_f16 v7, v2, v20
	v_pack_b32_f16 v28, v0, v22
	;; [unrolled: 1-line block ×3, first 2 shown]
	v_pk_add_f16 v1, v4, v1
	ds_write2_b32 v31, v23, v6 offset0:2 offset1:3
	ds_write2_b32 v31, v18, v24 offset0:4 offset1:5
	;; [unrolled: 1-line block ×4, first 2 shown]
	ds_write_b32 v31, v1 offset:40
	s_waitcnt lgkmcnt(0)
	s_barrier
	buffer_gl0_inv
	ds_read2_b32 v[6:7], v27 offset0:121 offset1:242
	ds_read2_b32 v[4:5], v29 offset0:107 offset1:228
	ds_read_b32 v29, v26
	ds_read_b32 v30, v27 offset:2420
	v_lshrrev_b32_e32 v24, 16, v1
	v_lshlrev_b32_e32 v18, 2, v14
                                        ; implicit-def: $vgpr28
                                        ; implicit-def: $vgpr23
	s_and_saveexec_b32 s1, s0
	s_cbranch_execz .LBB0_15
; %bb.14:
	v_add3_u32 v0, 0, v18, v17
	ds_read_b32 v16, v0
	ds_read2_b32 v[0:1], v21 offset0:45 offset1:166
	ds_read2_b32 v[2:3], v15 offset0:59 offset1:180
	ds_read_b32 v23, v27 offset:2684
	s_waitcnt lgkmcnt(3)
	v_mov_b32_e32 v22, v16
	s_waitcnt lgkmcnt(2)
	v_lshrrev_b32_e32 v24, 16, v1
	s_waitcnt lgkmcnt(1)
	v_lshrrev_b32_e32 v20, 16, v2
	;; [unrolled: 2-line block ×3, first 2 shown]
	v_lshrrev_b32_e32 v19, 16, v3
	ds_read_u16_d16 v22, v27 offset:1718
.LBB0_15:
	s_or_b32 exec_lo, exec_lo, s1
	v_and_b32_e32 v15, 0xff, v10
	s_waitcnt lgkmcnt(3)
	v_lshrrev_b32_e32 v39, 16, v6
	s_waitcnt lgkmcnt(2)
	v_lshrrev_b32_e32 v41, 16, v4
	;; [unrolled: 2-line block ×3, first 2 shown]
	v_lshrrev_b32_e32 v40, 16, v7
	v_mul_lo_u16 v15, 0x75, v15
	v_lshrrev_b32_e32 v42, 16, v5
	v_lshrrev_b32_e32 v38, 16, v29
	v_lshrrev_b16 v15, 8, v15
	v_sub_nc_u16 v21, v10, v15
	v_lshrrev_b16 v21, 1, v21
	v_and_b32_e32 v21, 0x7f, v21
	v_add_nc_u16 v15, v21, v15
	v_lshrrev_b16 v21, 3, v15
	v_mov_b32_e32 v15, 5
	v_mul_lo_u16 v31, v21, 11
	v_and_b32_e32 v37, 0xffff, v21
	v_mov_b32_e32 v21, 2
	v_sub_nc_u16 v35, v10, v31
	v_mad_u32_u24 v37, 0x108, v37, 0
	v_mul_u32_u24_sdwa v31, v35, v15 dst_sel:DWORD dst_unused:UNUSED_PAD src0_sel:BYTE_0 src1_sel:DWORD
	v_lshlrev_b32_sdwa v35, v21, v35 dst_sel:DWORD dst_unused:UNUSED_PAD src0_sel:DWORD src1_sel:BYTE_0
	v_lshlrev_b32_e32 v36, 2, v31
	v_add3_u32 v35, v37, v35, v17
	s_clause 0x1
	global_load_dwordx4 v[31:34], v36, s[12:13]
	global_load_dword v36, v36, s[12:13] offset:16
	s_waitcnt vmcnt(0)
	s_barrier
	buffer_gl0_inv
	v_mul_f16_sdwa v37, v31, v39 dst_sel:DWORD dst_unused:UNUSED_PAD src0_sel:WORD_1 src1_sel:DWORD
	v_mul_f16_sdwa v44, v31, v6 dst_sel:DWORD dst_unused:UNUSED_PAD src0_sel:WORD_1 src1_sel:DWORD
	;; [unrolled: 1-line block ×10, first 2 shown]
	v_fmac_f16_e32 v37, v31, v6
	v_fma_f16 v6, v31, v39, -v44
	v_fmac_f16_e32 v47, v33, v4
	v_fma_f16 v4, v33, v41, -v48
	;; [unrolled: 2-line block ×5, first 2 shown]
	v_sub_f16_e32 v41, v4, v30
	v_add_f16_e32 v42, v6, v4
	v_add_f16_e32 v4, v4, v30
	;; [unrolled: 1-line block ×4, first 2 shown]
	v_sub_f16_e32 v33, v7, v5
	v_add_f16_e32 v34, v38, v7
	v_add_f16_e32 v7, v7, v5
	;; [unrolled: 1-line block ×4, first 2 shown]
	v_sub_f16_e32 v43, v47, v51
	v_fmac_f16_e32 v6, -0.5, v4
	v_sub_f16_e32 v36, v45, v49
	v_add_f16_e32 v31, v31, v49
	v_fmac_f16_e32 v29, -0.5, v32
	v_add_f16_e32 v5, v34, v5
	v_fmac_f16_e32 v38, -0.5, v7
	;; [unrolled: 2-line block ×3, first 2 shown]
	v_fmamk_f16 v34, v43, 0x3aee, v6
	v_fmac_f16_e32 v6, 0xbaee, v43
	v_fmamk_f16 v4, v33, 0xbaee, v29
	v_fmac_f16_e32 v29, 0x3aee, v33
	;; [unrolled: 2-line block ×3, first 2 shown]
	v_fmamk_f16 v33, v41, 0xbaee, v37
	v_add_f16_e32 v36, v31, v7
	v_sub_f16_e32 v7, v31, v7
	v_mul_f16_e32 v31, 0xbaee, v34
	v_mul_f16_e32 v34, 0.5, v34
	v_add_f16_e32 v30, v42, v30
	v_fmac_f16_e32 v37, 0x3aee, v41
	v_mul_f16_e32 v40, 0xbaee, v6
	v_mul_f16_e32 v6, -0.5, v6
	v_fmac_f16_e32 v31, 0.5, v33
	v_fmac_f16_e32 v34, 0x3aee, v33
	v_add_f16_e32 v39, v5, v30
	v_fmac_f16_e32 v40, -0.5, v37
	v_fmac_f16_e32 v6, 0x3aee, v37
	v_sub_f16_e32 v5, v5, v30
	v_add_f16_e32 v33, v4, v31
	v_add_f16_e32 v37, v32, v34
	v_pack_b32_f16 v30, v36, v39
	v_add_f16_e32 v36, v29, v40
	v_add_f16_e32 v39, v38, v6
	v_sub_f16_e32 v4, v4, v31
	v_sub_f16_e32 v29, v29, v40
	;; [unrolled: 1-line block ×4, first 2 shown]
	v_pack_b32_f16 v5, v7, v5
	v_pack_b32_f16 v7, v33, v37
	;; [unrolled: 1-line block ×5, first 2 shown]
	ds_write2_b32 v35, v30, v7 offset1:11
	ds_write2_b32 v35, v32, v5 offset0:22 offset1:33
	ds_write2_b32 v35, v4, v6 offset0:44 offset1:55
	s_and_saveexec_b32 s1, s0
	s_cbranch_execz .LBB0_17
; %bb.16:
	v_and_b32_e32 v4, 0xff, v14
	v_mul_lo_u16 v4, 0x75, v4
	v_lshrrev_b16 v4, 8, v4
	v_sub_nc_u16 v5, v14, v4
	v_lshrrev_b16 v5, 1, v5
	v_and_b32_e32 v5, 0x7f, v5
	v_add_nc_u16 v4, v5, v4
	v_lshrrev_b16 v29, 3, v4
	v_mul_lo_u16 v4, v29, 11
	v_and_b32_e32 v29, 0xffff, v29
	v_sub_nc_u16 v30, v14, v4
	v_mad_u32_u24 v29, 0x108, v29, 0
	v_mul_u32_u24_sdwa v4, v30, v15 dst_sel:DWORD dst_unused:UNUSED_PAD src0_sel:BYTE_0 src1_sel:DWORD
	v_lshlrev_b32_sdwa v21, v21, v30 dst_sel:DWORD dst_unused:UNUSED_PAD src0_sel:DWORD src1_sel:BYTE_0
	v_lshrrev_b32_e32 v30, 16, v22
	v_lshlrev_b32_e32 v15, 2, v4
	v_add3_u32 v21, v29, v21, v17
	s_clause 0x1
	global_load_dwordx4 v[4:7], v15, s[12:13]
	global_load_dword v15, v15, s[12:13] offset:16
	s_waitcnt vmcnt(1)
	v_mul_f16_sdwa v33, v24, v7 dst_sel:DWORD dst_unused:UNUSED_PAD src0_sel:DWORD src1_sel:WORD_1
	v_mul_f16_sdwa v35, v22, v6 dst_sel:DWORD dst_unused:UNUSED_PAD src0_sel:DWORD src1_sel:WORD_1
	;; [unrolled: 1-line block ×3, first 2 shown]
	s_waitcnt vmcnt(0)
	v_mul_f16_sdwa v38, v23, v15 dst_sel:DWORD dst_unused:UNUSED_PAD src0_sel:DWORD src1_sel:WORD_1
	v_mul_f16_sdwa v29, v3, v5 dst_sel:DWORD dst_unused:UNUSED_PAD src0_sel:DWORD src1_sel:WORD_1
	;; [unrolled: 1-line block ×7, first 2 shown]
	v_fmac_f16_e32 v33, v1, v7
	v_fmac_f16_e32 v35, v0, v6
	v_fma_f16 v0, v22, v6, -v37
	v_fma_f16 v1, v28, v15, -v38
	;; [unrolled: 1-line block ×4, first 2 shown]
	v_fmac_f16_e32 v32, v3, v5
	v_fmac_f16_e32 v34, v2, v4
	;; [unrolled: 1-line block ×3, first 2 shown]
	v_fma_f16 v2, v20, v4, -v39
	v_add_f16_e32 v7, v0, v1
	v_sub_f16_e32 v6, v0, v1
	v_add_f16_e32 v20, v30, v19
	v_add_f16_e32 v5, v35, v36
	v_sub_f16_e32 v15, v35, v36
	v_add_f16_e32 v0, v2, v0
	v_add_f16_e32 v22, v32, v33
	v_fma_f16 v2, -0.5, v7, v2
	v_add_f16_e32 v3, v19, v24
	v_add_f16_e32 v23, v16, v32
	;; [unrolled: 1-line block ×3, first 2 shown]
	v_sub_f16_e32 v19, v19, v24
	v_fma_f16 v5, -0.5, v5, v34
	v_add_f16_e32 v7, v20, v24
	v_add_f16_e32 v0, v0, v1
	v_fma_f16 v1, -0.5, v22, v16
	v_fmamk_f16 v24, v15, 0xbaee, v2
	v_fmac_f16_e32 v2, 0x3aee, v15
	v_sub_f16_e32 v4, v32, v33
	v_fma_f16 v3, -0.5, v3, v30
	v_add_f16_e32 v16, v23, v33
	v_add_f16_e32 v20, v28, v36
	v_fmamk_f16 v23, v6, 0x3aee, v5
	v_fmac_f16_e32 v5, 0xbaee, v6
	v_fmamk_f16 v6, v19, 0x3aee, v1
	v_fmac_f16_e32 v1, 0xbaee, v19
	v_mul_f16_e32 v19, 0.5, v2
	v_mul_f16_e32 v2, 0xbaee, v2
	v_fmamk_f16 v22, v4, 0xbaee, v3
	v_fmac_f16_e32 v3, 0x3aee, v4
	v_sub_f16_e32 v4, v7, v0
	v_sub_f16_e32 v15, v16, v20
	v_add_f16_e32 v0, v7, v0
	v_mul_f16_e32 v7, -0.5, v24
	v_add_f16_e32 v16, v16, v20
	v_mul_f16_e32 v20, 0xbaee, v24
	v_fmac_f16_e32 v19, 0x3aee, v5
	v_fmac_f16_e32 v2, 0.5, v5
	v_fmac_f16_e32 v7, 0x3aee, v23
	v_pack_b32_f16 v0, v16, v0
	v_fmac_f16_e32 v20, -0.5, v23
	v_sub_f16_e32 v16, v3, v19
	v_add_f16_e32 v3, v3, v19
	v_add_f16_e32 v19, v1, v2
	v_sub_f16_e32 v5, v22, v7
	v_add_f16_e32 v7, v22, v7
	v_add_f16_e32 v22, v6, v20
	v_sub_f16_e32 v1, v1, v2
	v_sub_f16_e32 v2, v6, v20
	v_pack_b32_f16 v3, v19, v3
	v_pack_b32_f16 v4, v15, v4
	;; [unrolled: 1-line block ×5, first 2 shown]
	ds_write2_b32 v21, v0, v3 offset1:11
	ds_write2_b32 v21, v6, v4 offset0:22 offset1:33
	ds_write2_b32 v21, v1, v2 offset0:44 offset1:55
.LBB0_17:
	s_or_b32 exec_lo, exec_lo, s1
	v_mul_u32_u24_e32 v0, 10, v10
	s_waitcnt lgkmcnt(0)
	s_barrier
	buffer_gl0_inv
	v_add_nc_u32_e32 v28, 0x400, v27
	v_lshlrev_b32_e32 v15, 2, v0
	v_add3_u32 v17, 0, v18, v17
	v_add_nc_u32_e32 v29, 0x800, v27
	s_add_u32 s1, s12, 0xb2c
	s_addc_u32 s4, s13, 0
	s_clause 0x2
	global_load_dwordx4 v[0:3], v15, s[12:13] offset:220
	global_load_dwordx4 v[4:7], v15, s[12:13] offset:236
	global_load_dwordx2 v[15:16], v15, s[12:13] offset:252
	ds_read2_b32 v[21:22], v27 offset0:132 offset1:198
	ds_read_b32 v31, v27 offset:2640
	ds_read2_b32 v[19:20], v28 offset0:140 offset1:206
	ds_read_b32 v33, v17
	ds_read2_b32 v[17:18], v29 offset0:16 offset1:82
	ds_read2_b32 v[23:24], v28 offset0:8 offset1:74
	ds_read_u16 v32, v27 offset:1322
	ds_read_b32 v30, v26
	s_waitcnt vmcnt(0) lgkmcnt(0)
	s_barrier
	buffer_gl0_inv
	s_mov_b32 s5, exec_lo
	v_lshrrev_b32_e32 v36, 16, v31
	v_lshrrev_b32_e32 v37, 16, v19
	;; [unrolled: 1-line block ×9, first 2 shown]
	v_mul_f16_sdwa v43, v0, v38 dst_sel:DWORD dst_unused:UNUSED_PAD src0_sel:WORD_1 src1_sel:DWORD
	v_mul_f16_sdwa v44, v0, v33 dst_sel:DWORD dst_unused:UNUSED_PAD src0_sel:WORD_1 src1_sel:DWORD
	;; [unrolled: 1-line block ×4, first 2 shown]
	v_mul_f16_sdwa v57, v40, v7 dst_sel:DWORD dst_unused:UNUSED_PAD src0_sel:DWORD src1_sel:WORD_1
	v_mul_f16_sdwa v59, v41, v15 dst_sel:DWORD dst_unused:UNUSED_PAD src0_sel:DWORD src1_sel:WORD_1
	;; [unrolled: 1-line block ×3, first 2 shown]
	v_fmac_f16_e32 v43, v0, v33
	v_fma_f16 v0, v0, v38, -v44
	v_mul_f16_sdwa v61, v36, v16 dst_sel:DWORD dst_unused:UNUSED_PAD src0_sel:DWORD src1_sel:WORD_1
	v_mul_f16_sdwa v62, v31, v16 dst_sel:DWORD dst_unused:UNUSED_PAD src0_sel:DWORD src1_sel:WORD_1
	v_mul_f16_sdwa v47, v2, v35 dst_sel:DWORD dst_unused:UNUSED_PAD src0_sel:WORD_1 src1_sel:DWORD
	v_mul_f16_sdwa v48, v2, v22 dst_sel:DWORD dst_unused:UNUSED_PAD src0_sel:WORD_1 src1_sel:DWORD
	;; [unrolled: 1-line block ×3, first 2 shown]
	v_mul_f16_sdwa v58, v17, v7 dst_sel:DWORD dst_unused:UNUSED_PAD src0_sel:DWORD src1_sel:WORD_1
	v_fmac_f16_e32 v45, v1, v21
	v_fma_f16 v1, v1, v34, -v46
	v_fmac_f16_e32 v57, v17, v7
	v_fmac_f16_e32 v59, v18, v15
	v_fma_f16 v15, v41, v15, -v60
	v_add_f16_e32 v17, v43, v30
	v_add_f16_sdwa v18, v0, v30 dst_sel:DWORD dst_unused:UNUSED_PAD src0_sel:DWORD src1_sel:WORD_1
	v_mul_f16_sdwa v50, v3, v23 dst_sel:DWORD dst_unused:UNUSED_PAD src0_sel:WORD_1 src1_sel:DWORD
	v_mul_f16_sdwa v51, v32, v4 dst_sel:DWORD dst_unused:UNUSED_PAD src0_sel:DWORD src1_sel:WORD_1
	v_mul_f16_sdwa v52, v4, v24 dst_sel:DWORD dst_unused:UNUSED_PAD src0_sel:WORD_1 src1_sel:DWORD
	v_mul_f16_sdwa v53, v37, v5 dst_sel:DWORD dst_unused:UNUSED_PAD src0_sel:DWORD src1_sel:WORD_1
	v_mul_f16_sdwa v54, v19, v5 dst_sel:DWORD dst_unused:UNUSED_PAD src0_sel:DWORD src1_sel:WORD_1
	v_mul_f16_sdwa v55, v39, v6 dst_sel:DWORD dst_unused:UNUSED_PAD src0_sel:DWORD src1_sel:WORD_1
	v_mul_f16_sdwa v56, v20, v6 dst_sel:DWORD dst_unused:UNUSED_PAD src0_sel:DWORD src1_sel:WORD_1
	v_fmac_f16_e32 v61, v31, v16
	v_fma_f16 v16, v36, v16, -v62
	v_fmac_f16_e32 v47, v2, v22
	v_fma_f16 v2, v2, v35, -v48
	;; [unrolled: 2-line block ×3, first 2 shown]
	v_add_f16_e32 v23, v1, v15
	v_sub_f16_e32 v31, v1, v15
	v_add_f16_e32 v17, v17, v45
	v_add_f16_e32 v1, v18, v1
	v_fma_f16 v3, v3, v42, -v50
	v_fmac_f16_e32 v51, v4, v24
	v_fma_f16 v4, v32, v4, -v52
	v_fmac_f16_e32 v53, v19, v5
	;; [unrolled: 2-line block ×3, first 2 shown]
	v_fma_f16 v6, v39, v6, -v56
	v_add_f16_e32 v20, v0, v16
	v_sub_f16_e32 v0, v0, v16
	v_sub_f16_e32 v32, v2, v7
	v_add_f16_e32 v34, v2, v7
	v_add_f16_e32 v1, v1, v2
	;; [unrolled: 1-line block ×4, first 2 shown]
	v_sub_f16_e32 v21, v43, v61
	v_add_f16_e32 v22, v45, v59
	v_sub_f16_e32 v24, v45, v59
	v_sub_f16_e32 v36, v3, v6
	v_add_f16_e32 v38, v3, v6
	v_sub_f16_e32 v40, v4, v5
	v_add_f16_e32 v42, v4, v5
	v_mul_f16_e32 v18, 0xb853, v0
	v_mul_f16_e32 v44, 0x3abb, v20
	;; [unrolled: 1-line block ×10, first 2 shown]
	v_add_f16_e32 v2, v2, v49
	v_add_f16_e32 v1, v1, v3
	;; [unrolled: 1-line block ×3, first 2 shown]
	v_sub_f16_e32 v35, v47, v57
	v_add_f16_e32 v37, v49, v55
	v_sub_f16_e32 v39, v49, v55
	v_add_f16_e32 v41, v51, v53
	v_sub_f16_e32 v43, v51, v53
	v_mul_f16_e32 v56, 0xbb47, v31
	v_mul_f16_e32 v58, 0xba0c, v31
	v_mul_f16_e32 v60, 0x3482, v31
	v_mul_f16_e32 v62, 0x3beb, v31
	v_mul_f16_e32 v31, 0x3853, v31
	v_mul_f16_e32 v63, 0x36a6, v23
	v_mul_f16_e32 v64, 0xb93d, v23
	v_mul_f16_e32 v65, 0xbbad, v23
	v_mul_f16_e32 v66, 0xb08e, v23
	v_mul_f16_e32 v23, 0x3abb, v23
	v_mul_f16_e32 v67, 0xbbeb, v32
	v_mul_f16_e32 v68, 0x3482, v32
	v_mul_f16_e32 v69, 0x3b47, v32
	v_mul_f16_e32 v70, 0xb853, v32
	v_mul_f16_e32 v32, 0xba0c, v32
	v_mul_f16_e32 v71, 0xb08e, v34
	v_mul_f16_e32 v72, 0xbbad, v34
	v_mul_f16_e32 v73, 0x36a6, v34
	v_mul_f16_e32 v74, 0x3abb, v34
	v_mul_f16_e32 v34, 0xb93d, v34
	v_mul_f16_e32 v75, 0xba0c, v36
	v_mul_f16_e32 v76, 0x3beb, v36
	v_mul_f16_e32 v77, 0xb853, v36
	v_mul_f16_e32 v78, 0xb482, v36
	v_mul_f16_e32 v36, 0x3b47, v36
	v_mul_f16_e32 v79, 0xb93d, v38
	v_mul_f16_e32 v80, 0xb08e, v38
	v_mul_f16_e32 v81, 0x3abb, v38
	v_mul_f16_e32 v82, 0xbbad, v38
	v_mul_f16_e32 v38, 0x36a6, v38
	v_mul_f16_e32 v83, 0xb482, v40
	v_mul_f16_e32 v84, 0x3853, v40
	v_mul_f16_e32 v85, 0xba0c, v40
	v_mul_f16_e32 v86, 0x3b47, v40
	v_mul_f16_e32 v40, 0xbbeb, v40
	v_mul_f16_e32 v87, 0xbbad, v42
	v_mul_f16_e32 v88, 0x3abb, v42
	v_mul_f16_e32 v89, 0xb93d, v42
	v_mul_f16_e32 v90, 0x36a6, v42
	v_mul_f16_e32 v42, 0xb08e, v42
	v_fmamk_f16 v91, v19, 0x3abb, v18
	v_fmamk_f16 v92, v21, 0x3853, v44
	v_fma_f16 v18, v19, 0x3abb, -v18
	v_fmac_f16_e32 v44, 0xb853, v21
	v_fmamk_f16 v93, v19, 0x36a6, v45
	v_fmamk_f16 v94, v21, 0x3b47, v46
	v_fma_f16 v45, v19, 0x36a6, -v45
	v_fmac_f16_e32 v46, 0xbb47, v21
	;; [unrolled: 4-line block ×5, first 2 shown]
	v_add_f16_e32 v2, v2, v51
	v_add_f16_e32 v1, v1, v4
	v_fmamk_f16 v19, v22, 0x36a6, v56
	v_fma_f16 v21, v22, 0x36a6, -v56
	v_fmamk_f16 v56, v22, 0xb93d, v58
	v_fma_f16 v58, v22, 0xb93d, -v58
	v_fmamk_f16 v101, v22, 0xbbad, v60
	v_fma_f16 v60, v22, 0xbbad, -v60
	v_fmamk_f16 v102, v22, 0xb08e, v62
	v_fma_f16 v62, v22, 0xb08e, -v62
	v_fmamk_f16 v103, v22, 0x3abb, v31
	v_fma_f16 v22, v22, 0x3abb, -v31
	v_fmamk_f16 v31, v24, 0x3b47, v63
	v_fmac_f16_e32 v63, 0xbb47, v24
	v_fmamk_f16 v104, v24, 0x3a0c, v64
	v_fmac_f16_e32 v64, 0xba0c, v24
	v_fmamk_f16 v105, v24, 0xb482, v65
	v_fmac_f16_e32 v65, 0x3482, v24
	v_fmamk_f16 v106, v24, 0xbbeb, v66
	v_fmac_f16_e32 v66, 0x3beb, v24
	v_fmamk_f16 v107, v24, 0xb853, v23
	v_fmac_f16_e32 v23, 0x3853, v24
	v_fmamk_f16 v24, v33, 0xb08e, v67
	v_fma_f16 v67, v33, 0xb08e, -v67
	v_fmamk_f16 v108, v33, 0xbbad, v68
	v_fma_f16 v68, v33, 0xbbad, -v68
	v_fmamk_f16 v109, v33, 0x36a6, v69
	v_fma_f16 v69, v33, 0x36a6, -v69
	v_fmamk_f16 v110, v33, 0x3abb, v70
	v_fma_f16 v70, v33, 0x3abb, -v70
	v_fmamk_f16 v111, v33, 0xb93d, v32
	v_fma_f16 v32, v33, 0xb93d, -v32
	v_fmamk_f16 v17, v35, 0x3beb, v71
	v_fmac_f16_e32 v71, 0xbbeb, v35
	v_fmamk_f16 v33, v35, 0xb482, v72
	v_fmac_f16_e32 v72, 0x3482, v35
	v_fmamk_f16 v47, v35, 0xbb47, v73
	v_fmac_f16_e32 v73, 0x3b47, v35
	v_fmamk_f16 v112, v35, 0x3853, v74
	v_fmac_f16_e32 v74, 0xb853, v35
	v_fmamk_f16 v113, v35, 0x3a0c, v34
	v_fmac_f16_e32 v34, 0xba0c, v35
	;; [unrolled: 20-line block ×4, first 2 shown]
	v_add_f16_e32 v3, v91, v30
	v_add_f16_sdwa v43, v92, v30 dst_sel:DWORD dst_unused:UNUSED_PAD src0_sel:DWORD src1_sel:WORD_1
	v_add_f16_e32 v18, v18, v30
	v_add_f16_sdwa v44, v44, v30 dst_sel:DWORD dst_unused:UNUSED_PAD src0_sel:DWORD src1_sel:WORD_1
	;; [unrolled: 2-line block ×10, first 2 shown]
	v_add_f16_e32 v2, v2, v53
	v_add_f16_e32 v1, v1, v5
	;; [unrolled: 1-line block ×90, first 2 shown]
	v_pack_b32_f16 v3, v3, v4
	v_pack_b32_f16 v4, v7, v17
	;; [unrolled: 1-line block ×11, first 2 shown]
	ds_write2_b32 v27, v4, v7 offset0:132 offset1:198
	ds_write2_b32 v28, v15, v17 offset0:8 offset1:74
	;; [unrolled: 1-line block ×4, first 2 shown]
	ds_write_b32 v27, v5 offset:2640
	ds_write2_b32 v27, v1, v3 offset1:66
	s_waitcnt lgkmcnt(0)
	s_barrier
	buffer_gl0_inv
	ds_read_b32 v6, v26
	v_sub_nc_u32_e32 v2, v25, v11
                                        ; implicit-def: $vgpr5
                                        ; implicit-def: $vgpr3
                                        ; implicit-def: $vgpr4
                                        ; implicit-def: $vgpr0_vgpr1
	v_cmpx_ne_u32_e32 0, v10
	s_xor_b32 s5, exec_lo, s5
	s_cbranch_execz .LBB0_19
; %bb.18:
	v_mov_b32_e32 v11, 0
	v_lshlrev_b64 v[0:1], 2, v[10:11]
	v_add_co_u32 v0, s0, s1, v0
	v_add_co_ci_u32_e64 v1, s0, s4, v1, s0
	global_load_dword v0, v[0:1], off
	ds_read_b32 v1, v2 offset:2904
	s_waitcnt lgkmcnt(0)
	v_sub_f16_e32 v3, v6, v1
	v_add_f16_sdwa v4, v1, v6 dst_sel:DWORD dst_unused:UNUSED_PAD src0_sel:WORD_1 src1_sel:WORD_1
	v_sub_f16_sdwa v5, v6, v1 dst_sel:DWORD dst_unused:UNUSED_PAD src0_sel:WORD_1 src1_sel:WORD_1
	v_add_f16_e32 v1, v1, v6
	v_mul_f16_e32 v7, 0.5, v3
	v_mul_f16_e32 v6, 0.5, v4
	;; [unrolled: 1-line block ×3, first 2 shown]
	s_waitcnt vmcnt(0)
	v_lshrrev_b32_e32 v3, 16, v0
	v_mul_f16_e32 v5, v3, v7
	v_fma_f16 v15, v6, v3, v4
	v_fma_f16 v16, 0.5, v1, v5
	v_fma_f16 v1, v1, 0.5, -v5
	v_fma_f16 v5, v6, v3, -v4
	v_fma_f16 v4, -v0, v7, v15
	v_fmac_f16_e32 v16, v0, v6
	v_fma_f16 v3, -v0, v6, v1
	v_fma_f16 v5, -v0, v7, v5
	v_mov_b32_e32 v0, v10
	v_mov_b32_e32 v1, v11
	ds_write_b16 v26, v16
                                        ; implicit-def: $vgpr6
.LBB0_19:
	s_andn2_saveexec_b32 s0, s5
	s_cbranch_execz .LBB0_21
; %bb.20:
	ds_read_u16 v4, v25 offset:1454
	v_mov_b32_e32 v0, 0
	s_waitcnt lgkmcnt(1)
	v_add_f16_sdwa v7, v6, v6 dst_sel:DWORD dst_unused:UNUSED_PAD src0_sel:WORD_1 src1_sel:DWORD
	v_sub_f16_sdwa v3, v6, v6 dst_sel:DWORD dst_unused:UNUSED_PAD src0_sel:DWORD src1_sel:WORD_1
	v_mov_b32_e32 v1, 0
	v_mov_b32_e32 v5, 0
	s_waitcnt lgkmcnt(0)
	v_xor_b32_e32 v6, 0x8000, v4
	v_mov_b32_e32 v4, 0
	ds_write_b16 v26, v7
	ds_write_b16 v25, v6 offset:1454
.LBB0_21:
	s_or_b32 exec_lo, exec_lo, s0
	v_mov_b32_e32 v15, 0
	v_lshlrev_b64 v[0:1], 2, v[0:1]
	v_perm_b32 v3, v5, v3, 0x5040100
	v_lshl_add_u32 v5, v14, 2, v25
	s_waitcnt lgkmcnt(0)
	v_lshlrev_b64 v[6:7], 2, v[14:15]
	v_add_co_u32 v6, s0, s1, v6
	v_add_co_ci_u32_e64 v7, s0, s4, v7, s0
	v_add_co_u32 v0, s0, s1, v0
	v_add_co_ci_u32_e64 v1, s0, s4, v1, s0
	global_load_dword v6, v[6:7], off
	s_mov_b32 s1, exec_lo
	s_clause 0x2
	global_load_dword v7, v[0:1], off offset:528
	global_load_dword v11, v[0:1], off offset:792
	;; [unrolled: 1-line block ×3, first 2 shown]
	ds_write_b16 v26, v4 offset:2
	ds_write_b32 v2, v3 offset:2904
	ds_read_b32 v4, v2 offset:2640
	ds_read_b32 v3, v5
	s_waitcnt lgkmcnt(0)
	v_pk_add_f16 v14, v3, v4 neg_lo:[0,1] neg_hi:[0,1]
	v_pk_add_f16 v3, v3, v4
	v_bfi_b32 v4, 0xffff, v14, v3
	v_bfi_b32 v3, 0xffff, v3, v14
	v_pk_mul_f16 v4, v4, 0.5 op_sel_hi:[1,0]
	v_pk_mul_f16 v3, v3, 0.5 op_sel_hi:[1,0]
	s_waitcnt vmcnt(3)
	v_pk_fma_f16 v14, v6, v4, v3 op_sel:[1,0,0]
	v_pk_mul_f16 v16, v6, v4 op_sel_hi:[0,1]
	v_pk_fma_f16 v17, v6, v4, v3 op_sel:[1,0,0] neg_lo:[1,0,0] neg_hi:[1,0,0]
	v_pk_fma_f16 v3, v6, v4, v3 op_sel:[1,0,0] neg_lo:[0,0,1] neg_hi:[0,0,1]
	v_pk_add_f16 v4, v14, v16 op_sel:[0,1] op_sel_hi:[1,0]
	v_pk_add_f16 v6, v14, v16 op_sel:[0,1] op_sel_hi:[1,0] neg_lo:[0,1] neg_hi:[0,1]
	v_pk_add_f16 v14, v17, v16 op_sel:[0,1] op_sel_hi:[1,0] neg_lo:[0,1] neg_hi:[0,1]
	;; [unrolled: 1-line block ×3, first 2 shown]
	v_bfi_b32 v4, 0xffff, v4, v6
	v_bfi_b32 v3, 0xffff, v14, v3
	ds_write_b32 v5, v4
	ds_write_b32 v2, v3 offset:2640
	ds_read_b32 v3, v26 offset:528
	ds_read_b32 v4, v2 offset:2376
	s_waitcnt lgkmcnt(0)
	v_pk_add_f16 v5, v3, v4 neg_lo:[0,1] neg_hi:[0,1]
	v_pk_add_f16 v3, v3, v4
	v_bfi_b32 v4, 0xffff, v5, v3
	v_bfi_b32 v3, 0xffff, v3, v5
	v_pk_mul_f16 v4, v4, 0.5 op_sel_hi:[1,0]
	v_pk_mul_f16 v3, v3, 0.5 op_sel_hi:[1,0]
	s_waitcnt vmcnt(2)
	v_pk_mul_f16 v6, v7, v4 op_sel_hi:[0,1]
	v_pk_fma_f16 v5, v7, v4, v3 op_sel:[1,0,0]
	v_pk_fma_f16 v14, v7, v4, v3 op_sel:[1,0,0] neg_lo:[1,0,0] neg_hi:[1,0,0]
	v_pk_fma_f16 v3, v7, v4, v3 op_sel:[1,0,0] neg_lo:[0,0,1] neg_hi:[0,0,1]
	v_pk_add_f16 v4, v5, v6 op_sel:[0,1] op_sel_hi:[1,0]
	v_pk_add_f16 v5, v5, v6 op_sel:[0,1] op_sel_hi:[1,0] neg_lo:[0,1] neg_hi:[0,1]
	v_pk_add_f16 v7, v14, v6 op_sel:[0,1] op_sel_hi:[1,0] neg_lo:[0,1] neg_hi:[0,1]
	v_pk_add_f16 v3, v3, v6 op_sel:[0,1] op_sel_hi:[1,0] neg_lo:[0,1] neg_hi:[0,1]
	v_bfi_b32 v4, 0xffff, v4, v5
	v_bfi_b32 v3, 0xffff, v7, v3
	ds_write_b32 v26, v4 offset:528
	ds_write_b32 v2, v3 offset:2376
	ds_read_b32 v3, v26 offset:792
	ds_read_b32 v4, v2 offset:2112
	s_waitcnt lgkmcnt(0)
	v_pk_add_f16 v5, v3, v4 neg_lo:[0,1] neg_hi:[0,1]
	v_pk_add_f16 v3, v3, v4
	v_bfi_b32 v4, 0xffff, v5, v3
	v_bfi_b32 v3, 0xffff, v3, v5
	v_pk_mul_f16 v4, v4, 0.5 op_sel_hi:[1,0]
	v_pk_mul_f16 v3, v3, 0.5 op_sel_hi:[1,0]
	s_waitcnt vmcnt(1)
	v_pk_mul_f16 v6, v11, v4 op_sel_hi:[0,1]
	v_pk_fma_f16 v5, v11, v4, v3 op_sel:[1,0,0]
	v_pk_fma_f16 v7, v11, v4, v3 op_sel:[1,0,0] neg_lo:[1,0,0] neg_hi:[1,0,0]
	v_pk_fma_f16 v3, v11, v4, v3 op_sel:[1,0,0] neg_lo:[0,0,1] neg_hi:[0,0,1]
	v_pk_add_f16 v4, v5, v6 op_sel:[0,1] op_sel_hi:[1,0]
	v_pk_add_f16 v5, v5, v6 op_sel:[0,1] op_sel_hi:[1,0] neg_lo:[0,1] neg_hi:[0,1]
	v_pk_add_f16 v7, v7, v6 op_sel:[0,1] op_sel_hi:[1,0] neg_lo:[0,1] neg_hi:[0,1]
	v_pk_add_f16 v3, v3, v6 op_sel:[0,1] op_sel_hi:[1,0] neg_lo:[0,1] neg_hi:[0,1]
	v_bfi_b32 v4, 0xffff, v4, v5
	v_bfi_b32 v3, 0xffff, v7, v3
	ds_write_b32 v26, v4 offset:792
	;; [unrolled: 22-line block ×3, first 2 shown]
	ds_write_b32 v2, v3 offset:1848
	v_cmpx_gt_u32_e32 33, v10
	s_cbranch_execz .LBB0_23
; %bb.22:
	global_load_dword v0, v[0:1], off offset:1320
	ds_read_b32 v1, v26 offset:1320
	ds_read_b32 v3, v2 offset:1584
	s_waitcnt lgkmcnt(0)
	v_pk_add_f16 v4, v1, v3 neg_lo:[0,1] neg_hi:[0,1]
	v_pk_add_f16 v1, v1, v3
	v_bfi_b32 v3, 0xffff, v4, v1
	v_bfi_b32 v1, 0xffff, v1, v4
	v_pk_mul_f16 v3, v3, 0.5 op_sel_hi:[1,0]
	v_pk_mul_f16 v1, v1, 0.5 op_sel_hi:[1,0]
	s_waitcnt vmcnt(0)
	v_pk_fma_f16 v4, v0, v3, v1 op_sel:[1,0,0]
	v_pk_mul_f16 v5, v0, v3 op_sel_hi:[0,1]
	v_pk_fma_f16 v6, v0, v3, v1 op_sel:[1,0,0] neg_lo:[1,0,0] neg_hi:[1,0,0]
	v_pk_fma_f16 v0, v0, v3, v1 op_sel:[1,0,0] neg_lo:[0,0,1] neg_hi:[0,0,1]
	v_pk_add_f16 v1, v4, v5 op_sel:[0,1] op_sel_hi:[1,0]
	v_pk_add_f16 v3, v4, v5 op_sel:[0,1] op_sel_hi:[1,0] neg_lo:[0,1] neg_hi:[0,1]
	v_pk_add_f16 v4, v6, v5 op_sel:[0,1] op_sel_hi:[1,0] neg_lo:[0,1] neg_hi:[0,1]
	;; [unrolled: 1-line block ×3, first 2 shown]
	v_bfi_b32 v1, 0xffff, v1, v3
	v_bfi_b32 v0, 0xffff, v4, v0
	ds_write_b32 v26, v1 offset:1320
	ds_write_b32 v2, v0 offset:1584
.LBB0_23:
	s_or_b32 exec_lo, exec_lo, s1
	s_waitcnt lgkmcnt(0)
	s_barrier
	buffer_gl0_inv
	s_and_saveexec_b32 s0, vcc_lo
	s_cbranch_execz .LBB0_26
; %bb.24:
	v_mul_lo_u32 v3, s3, v12
	v_mul_lo_u32 v4, s2, v13
	v_mad_u64_u32 v[1:2], null, s2, v12, 0
	v_lshl_add_u32 v0, v10, 2, v25
	v_mov_b32_e32 v11, 0
	v_add_nc_u32_e32 v5, 0x42, v10
	v_add_nc_u32_e32 v7, 0x84, v10
	;; [unrolled: 1-line block ×3, first 2 shown]
	ds_read2_b32 v[12:13], v0 offset1:66
	v_add3_u32 v2, v2, v4, v3
	v_lshlrev_b64 v[3:4], 2, v[8:9]
	v_mov_b32_e32 v6, v11
	ds_read2_b32 v[16:17], v0 offset0:132 offset1:198
	v_lshlrev_b64 v[14:15], 2, v[10:11]
	v_lshlrev_b64 v[1:2], 2, v[1:2]
	v_mov_b32_e32 v8, v11
	v_lshlrev_b64 v[5:6], 2, v[5:6]
	v_add_nc_u32_e32 v9, 0x400, v0
	v_mov_b32_e32 v21, v11
	v_add_co_u32 v1, vcc_lo, s10, v1
	v_add_co_ci_u32_e32 v2, vcc_lo, s11, v2, vcc_lo
	v_add_co_u32 v1, vcc_lo, v1, v3
	v_add_co_ci_u32_e32 v2, vcc_lo, v2, v4, vcc_lo
	v_lshlrev_b64 v[3:4], 2, v[7:8]
	v_add_co_u32 v7, vcc_lo, v1, v14
	v_add_co_ci_u32_e32 v8, vcc_lo, v2, v15, vcc_lo
	v_add_co_u32 v5, vcc_lo, v1, v5
	v_add_co_ci_u32_e32 v6, vcc_lo, v2, v6, vcc_lo
	v_add_co_u32 v3, vcc_lo, v1, v3
	v_add_co_ci_u32_e32 v4, vcc_lo, v2, v4, vcc_lo
	v_add_nc_u32_e32 v14, 0xc6, v10
	v_mov_b32_e32 v15, v11
	s_waitcnt lgkmcnt(1)
	global_store_dword v[7:8], v12, off
	global_store_dword v[5:6], v13, off
	s_waitcnt lgkmcnt(0)
	global_store_dword v[3:4], v16, off
	v_add_nc_u32_e32 v5, 0x108, v10
	v_mov_b32_e32 v6, v11
	ds_read2_b32 v[12:13], v9 offset0:8 offset1:74
	v_lshlrev_b64 v[3:4], 2, v[14:15]
	v_add_nc_u32_e32 v7, 0x14a, v10
	v_mov_b32_e32 v8, v11
	ds_read2_b32 v[18:19], v9 offset0:140 offset1:206
	v_lshlrev_b64 v[5:6], 2, v[5:6]
	v_add_nc_u32_e32 v14, 0x18c, v10
	v_add_co_u32 v3, vcc_lo, v1, v3
	v_lshlrev_b64 v[7:8], 2, v[7:8]
	v_add_co_ci_u32_e32 v4, vcc_lo, v2, v4, vcc_lo
	v_add_co_u32 v5, vcc_lo, v1, v5
	v_lshlrev_b64 v[14:15], 2, v[14:15]
	v_add_co_ci_u32_e32 v6, vcc_lo, v2, v6, vcc_lo
	v_add_co_u32 v7, vcc_lo, v1, v7
	v_add_co_ci_u32_e32 v8, vcc_lo, v2, v8, vcc_lo
	v_add_co_u32 v14, vcc_lo, v1, v14
	v_add_co_ci_u32_e32 v15, vcc_lo, v2, v15, vcc_lo
	global_store_dword v[3:4], v17, off
	s_waitcnt lgkmcnt(1)
	global_store_dword v[5:6], v12, off
	global_store_dword v[7:8], v13, off
	s_waitcnt lgkmcnt(0)
	global_store_dword v[14:15], v18, off
	v_add_nc_u32_e32 v5, 0x210, v10
	v_mov_b32_e32 v6, v11
	v_add_nc_u32_e32 v9, 0x800, v0
	v_lshlrev_b64 v[3:4], 2, v[20:21]
	v_add_nc_u32_e32 v7, 0x252, v10
	v_mov_b32_e32 v8, v11
	v_lshlrev_b64 v[5:6], 2, v[5:6]
	ds_read2_b32 v[12:13], v9 offset0:16 offset1:82
	v_add_nc_u32_e32 v14, 0x294, v10
	v_mov_b32_e32 v15, v11
	v_add_co_u32 v3, vcc_lo, v1, v3
	v_lshlrev_b64 v[7:8], 2, v[7:8]
	ds_read_b32 v9, v0 offset:2640
	v_add_co_ci_u32_e32 v4, vcc_lo, v2, v4, vcc_lo
	v_add_co_u32 v5, vcc_lo, v1, v5
	v_lshlrev_b64 v[14:15], 2, v[14:15]
	v_add_co_ci_u32_e32 v6, vcc_lo, v2, v6, vcc_lo
	v_add_co_u32 v7, vcc_lo, v1, v7
	v_add_co_ci_u32_e32 v8, vcc_lo, v2, v8, vcc_lo
	v_add_co_u32 v14, vcc_lo, v1, v14
	v_add_co_ci_u32_e32 v15, vcc_lo, v2, v15, vcc_lo
	v_cmp_eq_u32_e32 vcc_lo, 0x41, v10
	global_store_dword v[3:4], v19, off
	s_waitcnt lgkmcnt(1)
	global_store_dword v[5:6], v12, off
	global_store_dword v[7:8], v13, off
	s_waitcnt lgkmcnt(0)
	global_store_dword v[14:15], v9, off
	s_and_b32 exec_lo, exec_lo, vcc_lo
	s_cbranch_execz .LBB0_26
; %bb.25:
	ds_read_b32 v3, v0 offset:2644
	v_add_co_u32 v0, vcc_lo, 0x800, v1
	v_add_co_ci_u32_e32 v1, vcc_lo, 0, v2, vcc_lo
	s_waitcnt lgkmcnt(0)
	global_store_dword v[0:1], v3, off offset:856
.LBB0_26:
	s_endpgm
	.section	.rodata,"a",@progbits
	.p2align	6, 0x0
	.amdhsa_kernel fft_rtc_back_len726_factors_11_6_11_wgs_132_tpt_66_half_op_CI_CI_unitstride_sbrr_R2C_dirReg
		.amdhsa_group_segment_fixed_size 0
		.amdhsa_private_segment_fixed_size 0
		.amdhsa_kernarg_size 104
		.amdhsa_user_sgpr_count 6
		.amdhsa_user_sgpr_private_segment_buffer 1
		.amdhsa_user_sgpr_dispatch_ptr 0
		.amdhsa_user_sgpr_queue_ptr 0
		.amdhsa_user_sgpr_kernarg_segment_ptr 1
		.amdhsa_user_sgpr_dispatch_id 0
		.amdhsa_user_sgpr_flat_scratch_init 0
		.amdhsa_user_sgpr_private_segment_size 0
		.amdhsa_wavefront_size32 1
		.amdhsa_uses_dynamic_stack 0
		.amdhsa_system_sgpr_private_segment_wavefront_offset 0
		.amdhsa_system_sgpr_workgroup_id_x 1
		.amdhsa_system_sgpr_workgroup_id_y 0
		.amdhsa_system_sgpr_workgroup_id_z 0
		.amdhsa_system_sgpr_workgroup_info 0
		.amdhsa_system_vgpr_workitem_id 0
		.amdhsa_next_free_vgpr 130
		.amdhsa_next_free_sgpr 27
		.amdhsa_reserve_vcc 1
		.amdhsa_reserve_flat_scratch 0
		.amdhsa_float_round_mode_32 0
		.amdhsa_float_round_mode_16_64 0
		.amdhsa_float_denorm_mode_32 3
		.amdhsa_float_denorm_mode_16_64 3
		.amdhsa_dx10_clamp 1
		.amdhsa_ieee_mode 1
		.amdhsa_fp16_overflow 0
		.amdhsa_workgroup_processor_mode 1
		.amdhsa_memory_ordered 1
		.amdhsa_forward_progress 0
		.amdhsa_shared_vgpr_count 0
		.amdhsa_exception_fp_ieee_invalid_op 0
		.amdhsa_exception_fp_denorm_src 0
		.amdhsa_exception_fp_ieee_div_zero 0
		.amdhsa_exception_fp_ieee_overflow 0
		.amdhsa_exception_fp_ieee_underflow 0
		.amdhsa_exception_fp_ieee_inexact 0
		.amdhsa_exception_int_div_zero 0
	.end_amdhsa_kernel
	.text
.Lfunc_end0:
	.size	fft_rtc_back_len726_factors_11_6_11_wgs_132_tpt_66_half_op_CI_CI_unitstride_sbrr_R2C_dirReg, .Lfunc_end0-fft_rtc_back_len726_factors_11_6_11_wgs_132_tpt_66_half_op_CI_CI_unitstride_sbrr_R2C_dirReg
                                        ; -- End function
	.section	.AMDGPU.csdata,"",@progbits
; Kernel info:
; codeLenInByte = 9880
; NumSgprs: 29
; NumVgprs: 130
; ScratchSize: 0
; MemoryBound: 0
; FloatMode: 240
; IeeeMode: 1
; LDSByteSize: 0 bytes/workgroup (compile time only)
; SGPRBlocks: 3
; VGPRBlocks: 16
; NumSGPRsForWavesPerEU: 29
; NumVGPRsForWavesPerEU: 130
; Occupancy: 7
; WaveLimiterHint : 1
; COMPUTE_PGM_RSRC2:SCRATCH_EN: 0
; COMPUTE_PGM_RSRC2:USER_SGPR: 6
; COMPUTE_PGM_RSRC2:TRAP_HANDLER: 0
; COMPUTE_PGM_RSRC2:TGID_X_EN: 1
; COMPUTE_PGM_RSRC2:TGID_Y_EN: 0
; COMPUTE_PGM_RSRC2:TGID_Z_EN: 0
; COMPUTE_PGM_RSRC2:TIDIG_COMP_CNT: 0
	.text
	.p2alignl 6, 3214868480
	.fill 48, 4, 3214868480
	.type	__hip_cuid_a7e39d868e1707aa,@object ; @__hip_cuid_a7e39d868e1707aa
	.section	.bss,"aw",@nobits
	.globl	__hip_cuid_a7e39d868e1707aa
__hip_cuid_a7e39d868e1707aa:
	.byte	0                               ; 0x0
	.size	__hip_cuid_a7e39d868e1707aa, 1

	.ident	"AMD clang version 19.0.0git (https://github.com/RadeonOpenCompute/llvm-project roc-6.4.0 25133 c7fe45cf4b819c5991fe208aaa96edf142730f1d)"
	.section	".note.GNU-stack","",@progbits
	.addrsig
	.addrsig_sym __hip_cuid_a7e39d868e1707aa
	.amdgpu_metadata
---
amdhsa.kernels:
  - .args:
      - .actual_access:  read_only
        .address_space:  global
        .offset:         0
        .size:           8
        .value_kind:     global_buffer
      - .offset:         8
        .size:           8
        .value_kind:     by_value
      - .actual_access:  read_only
        .address_space:  global
        .offset:         16
        .size:           8
        .value_kind:     global_buffer
      - .actual_access:  read_only
        .address_space:  global
        .offset:         24
        .size:           8
        .value_kind:     global_buffer
      - .actual_access:  read_only
        .address_space:  global
        .offset:         32
        .size:           8
        .value_kind:     global_buffer
      - .offset:         40
        .size:           8
        .value_kind:     by_value
      - .actual_access:  read_only
        .address_space:  global
        .offset:         48
        .size:           8
        .value_kind:     global_buffer
      - .actual_access:  read_only
        .address_space:  global
        .offset:         56
        .size:           8
        .value_kind:     global_buffer
      - .offset:         64
        .size:           4
        .value_kind:     by_value
      - .actual_access:  read_only
        .address_space:  global
        .offset:         72
        .size:           8
        .value_kind:     global_buffer
      - .actual_access:  read_only
        .address_space:  global
        .offset:         80
        .size:           8
        .value_kind:     global_buffer
      - .actual_access:  read_only
        .address_space:  global
        .offset:         88
        .size:           8
        .value_kind:     global_buffer
      - .actual_access:  write_only
        .address_space:  global
        .offset:         96
        .size:           8
        .value_kind:     global_buffer
    .group_segment_fixed_size: 0
    .kernarg_segment_align: 8
    .kernarg_segment_size: 104
    .language:       OpenCL C
    .language_version:
      - 2
      - 0
    .max_flat_workgroup_size: 132
    .name:           fft_rtc_back_len726_factors_11_6_11_wgs_132_tpt_66_half_op_CI_CI_unitstride_sbrr_R2C_dirReg
    .private_segment_fixed_size: 0
    .sgpr_count:     29
    .sgpr_spill_count: 0
    .symbol:         fft_rtc_back_len726_factors_11_6_11_wgs_132_tpt_66_half_op_CI_CI_unitstride_sbrr_R2C_dirReg.kd
    .uniform_work_group_size: 1
    .uses_dynamic_stack: false
    .vgpr_count:     130
    .vgpr_spill_count: 0
    .wavefront_size: 32
    .workgroup_processor_mode: 1
amdhsa.target:   amdgcn-amd-amdhsa--gfx1030
amdhsa.version:
  - 1
  - 2
...

	.end_amdgpu_metadata
